;; amdgpu-corpus repo=ROCm/rocFFT kind=compiled arch=gfx1030 opt=O3
	.text
	.amdgcn_target "amdgcn-amd-amdhsa--gfx1030"
	.amdhsa_code_object_version 6
	.protected	fft_rtc_fwd_len1568_factors_2_2_2_2_2_7_7_wgs_224_tpt_224_halfLds_dp_ip_CI_sbrr_dirReg ; -- Begin function fft_rtc_fwd_len1568_factors_2_2_2_2_2_7_7_wgs_224_tpt_224_halfLds_dp_ip_CI_sbrr_dirReg
	.globl	fft_rtc_fwd_len1568_factors_2_2_2_2_2_7_7_wgs_224_tpt_224_halfLds_dp_ip_CI_sbrr_dirReg
	.p2align	8
	.type	fft_rtc_fwd_len1568_factors_2_2_2_2_2_7_7_wgs_224_tpt_224_halfLds_dp_ip_CI_sbrr_dirReg,@function
fft_rtc_fwd_len1568_factors_2_2_2_2_2_7_7_wgs_224_tpt_224_halfLds_dp_ip_CI_sbrr_dirReg: ; @fft_rtc_fwd_len1568_factors_2_2_2_2_2_7_7_wgs_224_tpt_224_halfLds_dp_ip_CI_sbrr_dirReg
; %bb.0:
	s_clause 0x2
	s_load_dwordx2 s[14:15], s[4:5], 0x18
	s_load_dwordx4 s[8:11], s[4:5], 0x0
	s_load_dwordx2 s[12:13], s[4:5], 0x50
	v_mul_u32_u24_e32 v1, 0x125, v0
	v_mov_b32_e32 v3, 0
	v_add_nc_u32_sdwa v5, s6, v1 dst_sel:DWORD dst_unused:UNUSED_PAD src0_sel:DWORD src1_sel:WORD_1
	v_mov_b32_e32 v1, 0
	v_mov_b32_e32 v6, v3
	v_mov_b32_e32 v2, 0
	s_waitcnt lgkmcnt(0)
	s_load_dwordx2 s[2:3], s[14:15], 0x0
	v_cmp_lt_u64_e64 s0, s[10:11], 2
	s_and_b32 vcc_lo, exec_lo, s0
	s_cbranch_vccnz .LBB0_8
; %bb.1:
	s_load_dwordx2 s[0:1], s[4:5], 0x10
	v_mov_b32_e32 v1, 0
	s_add_u32 s6, s14, 8
	v_mov_b32_e32 v2, 0
	s_addc_u32 s7, s15, 0
	s_mov_b64 s[18:19], 1
	s_waitcnt lgkmcnt(0)
	s_add_u32 s16, s0, 8
	s_addc_u32 s17, s1, 0
.LBB0_2:                                ; =>This Inner Loop Header: Depth=1
	s_load_dwordx2 s[20:21], s[16:17], 0x0
                                        ; implicit-def: $vgpr7_vgpr8
	s_mov_b32 s0, exec_lo
	s_waitcnt lgkmcnt(0)
	v_or_b32_e32 v4, s21, v6
	v_cmpx_ne_u64_e32 0, v[3:4]
	s_xor_b32 s1, exec_lo, s0
	s_cbranch_execz .LBB0_4
; %bb.3:                                ;   in Loop: Header=BB0_2 Depth=1
	v_cvt_f32_u32_e32 v4, s20
	v_cvt_f32_u32_e32 v7, s21
	s_sub_u32 s0, 0, s20
	s_subb_u32 s22, 0, s21
	v_fmac_f32_e32 v4, 0x4f800000, v7
	v_rcp_f32_e32 v4, v4
	v_mul_f32_e32 v4, 0x5f7ffffc, v4
	v_mul_f32_e32 v7, 0x2f800000, v4
	v_trunc_f32_e32 v7, v7
	v_fmac_f32_e32 v4, 0xcf800000, v7
	v_cvt_u32_f32_e32 v7, v7
	v_cvt_u32_f32_e32 v4, v4
	v_mul_lo_u32 v8, s0, v7
	v_mul_hi_u32 v9, s0, v4
	v_mul_lo_u32 v10, s22, v4
	v_add_nc_u32_e32 v8, v9, v8
	v_mul_lo_u32 v9, s0, v4
	v_add_nc_u32_e32 v8, v8, v10
	v_mul_hi_u32 v10, v4, v9
	v_mul_lo_u32 v11, v4, v8
	v_mul_hi_u32 v12, v4, v8
	v_mul_hi_u32 v13, v7, v9
	v_mul_lo_u32 v9, v7, v9
	v_mul_hi_u32 v14, v7, v8
	v_mul_lo_u32 v8, v7, v8
	v_add_co_u32 v10, vcc_lo, v10, v11
	v_add_co_ci_u32_e32 v11, vcc_lo, 0, v12, vcc_lo
	v_add_co_u32 v9, vcc_lo, v10, v9
	v_add_co_ci_u32_e32 v9, vcc_lo, v11, v13, vcc_lo
	v_add_co_ci_u32_e32 v10, vcc_lo, 0, v14, vcc_lo
	v_add_co_u32 v8, vcc_lo, v9, v8
	v_add_co_ci_u32_e32 v9, vcc_lo, 0, v10, vcc_lo
	v_add_co_u32 v4, vcc_lo, v4, v8
	v_add_co_ci_u32_e32 v7, vcc_lo, v7, v9, vcc_lo
	v_mul_hi_u32 v8, s0, v4
	v_mul_lo_u32 v10, s22, v4
	v_mul_lo_u32 v9, s0, v7
	v_add_nc_u32_e32 v8, v8, v9
	v_mul_lo_u32 v9, s0, v4
	v_add_nc_u32_e32 v8, v8, v10
	v_mul_hi_u32 v10, v4, v9
	v_mul_lo_u32 v11, v4, v8
	v_mul_hi_u32 v12, v4, v8
	v_mul_hi_u32 v13, v7, v9
	v_mul_lo_u32 v9, v7, v9
	v_mul_hi_u32 v14, v7, v8
	v_mul_lo_u32 v8, v7, v8
	v_add_co_u32 v10, vcc_lo, v10, v11
	v_add_co_ci_u32_e32 v11, vcc_lo, 0, v12, vcc_lo
	v_add_co_u32 v9, vcc_lo, v10, v9
	v_add_co_ci_u32_e32 v9, vcc_lo, v11, v13, vcc_lo
	v_add_co_ci_u32_e32 v10, vcc_lo, 0, v14, vcc_lo
	v_add_co_u32 v8, vcc_lo, v9, v8
	v_add_co_ci_u32_e32 v9, vcc_lo, 0, v10, vcc_lo
	v_add_co_u32 v4, vcc_lo, v4, v8
	v_add_co_ci_u32_e32 v11, vcc_lo, v7, v9, vcc_lo
	v_mul_hi_u32 v13, v5, v4
	v_mad_u64_u32 v[9:10], null, v6, v4, 0
	v_mad_u64_u32 v[7:8], null, v5, v11, 0
	;; [unrolled: 1-line block ×3, first 2 shown]
	v_add_co_u32 v4, vcc_lo, v13, v7
	v_add_co_ci_u32_e32 v7, vcc_lo, 0, v8, vcc_lo
	v_add_co_u32 v4, vcc_lo, v4, v9
	v_add_co_ci_u32_e32 v4, vcc_lo, v7, v10, vcc_lo
	v_add_co_ci_u32_e32 v7, vcc_lo, 0, v12, vcc_lo
	v_add_co_u32 v4, vcc_lo, v4, v11
	v_add_co_ci_u32_e32 v9, vcc_lo, 0, v7, vcc_lo
	v_mul_lo_u32 v10, s21, v4
	v_mad_u64_u32 v[7:8], null, s20, v4, 0
	v_mul_lo_u32 v11, s20, v9
	v_sub_co_u32 v7, vcc_lo, v5, v7
	v_add3_u32 v8, v8, v11, v10
	v_sub_nc_u32_e32 v10, v6, v8
	v_subrev_co_ci_u32_e64 v10, s0, s21, v10, vcc_lo
	v_add_co_u32 v11, s0, v4, 2
	v_add_co_ci_u32_e64 v12, s0, 0, v9, s0
	v_sub_co_u32 v13, s0, v7, s20
	v_sub_co_ci_u32_e32 v8, vcc_lo, v6, v8, vcc_lo
	v_subrev_co_ci_u32_e64 v10, s0, 0, v10, s0
	v_cmp_le_u32_e32 vcc_lo, s20, v13
	v_cmp_eq_u32_e64 s0, s21, v8
	v_cndmask_b32_e64 v13, 0, -1, vcc_lo
	v_cmp_le_u32_e32 vcc_lo, s21, v10
	v_cndmask_b32_e64 v14, 0, -1, vcc_lo
	v_cmp_le_u32_e32 vcc_lo, s20, v7
	;; [unrolled: 2-line block ×3, first 2 shown]
	v_cndmask_b32_e64 v15, 0, -1, vcc_lo
	v_cmp_eq_u32_e32 vcc_lo, s21, v10
	v_cndmask_b32_e64 v7, v15, v7, s0
	v_cndmask_b32_e32 v10, v14, v13, vcc_lo
	v_add_co_u32 v13, vcc_lo, v4, 1
	v_add_co_ci_u32_e32 v14, vcc_lo, 0, v9, vcc_lo
	v_cmp_ne_u32_e32 vcc_lo, 0, v10
	v_cndmask_b32_e32 v8, v14, v12, vcc_lo
	v_cndmask_b32_e32 v10, v13, v11, vcc_lo
	v_cmp_ne_u32_e32 vcc_lo, 0, v7
	v_cndmask_b32_e32 v8, v9, v8, vcc_lo
	v_cndmask_b32_e32 v7, v4, v10, vcc_lo
.LBB0_4:                                ;   in Loop: Header=BB0_2 Depth=1
	s_andn2_saveexec_b32 s0, s1
	s_cbranch_execz .LBB0_6
; %bb.5:                                ;   in Loop: Header=BB0_2 Depth=1
	v_cvt_f32_u32_e32 v4, s20
	s_sub_i32 s1, 0, s20
	v_rcp_iflag_f32_e32 v4, v4
	v_mul_f32_e32 v4, 0x4f7ffffe, v4
	v_cvt_u32_f32_e32 v4, v4
	v_mul_lo_u32 v7, s1, v4
	v_mul_hi_u32 v7, v4, v7
	v_add_nc_u32_e32 v4, v4, v7
	v_mul_hi_u32 v4, v5, v4
	v_mul_lo_u32 v7, v4, s20
	v_add_nc_u32_e32 v8, 1, v4
	v_sub_nc_u32_e32 v7, v5, v7
	v_subrev_nc_u32_e32 v9, s20, v7
	v_cmp_le_u32_e32 vcc_lo, s20, v7
	v_cndmask_b32_e32 v7, v7, v9, vcc_lo
	v_cndmask_b32_e32 v4, v4, v8, vcc_lo
	v_cmp_le_u32_e32 vcc_lo, s20, v7
	v_add_nc_u32_e32 v8, 1, v4
	v_cndmask_b32_e32 v7, v4, v8, vcc_lo
	v_mov_b32_e32 v8, v3
.LBB0_6:                                ;   in Loop: Header=BB0_2 Depth=1
	s_or_b32 exec_lo, exec_lo, s0
	s_load_dwordx2 s[0:1], s[6:7], 0x0
	v_mul_lo_u32 v4, v8, s20
	v_mul_lo_u32 v11, v7, s21
	v_mad_u64_u32 v[9:10], null, v7, s20, 0
	s_add_u32 s18, s18, 1
	s_addc_u32 s19, s19, 0
	s_add_u32 s6, s6, 8
	s_addc_u32 s7, s7, 0
	;; [unrolled: 2-line block ×3, first 2 shown]
	v_add3_u32 v4, v10, v11, v4
	v_sub_co_u32 v5, vcc_lo, v5, v9
	v_sub_co_ci_u32_e32 v4, vcc_lo, v6, v4, vcc_lo
	s_waitcnt lgkmcnt(0)
	v_mul_lo_u32 v6, s1, v5
	v_mul_lo_u32 v4, s0, v4
	v_mad_u64_u32 v[1:2], null, s0, v5, v[1:2]
	v_cmp_ge_u64_e64 s0, s[18:19], s[10:11]
	s_and_b32 vcc_lo, exec_lo, s0
	v_add3_u32 v2, v6, v2, v4
	s_cbranch_vccnz .LBB0_9
; %bb.7:                                ;   in Loop: Header=BB0_2 Depth=1
	v_mov_b32_e32 v5, v7
	v_mov_b32_e32 v6, v8
	s_branch .LBB0_2
.LBB0_8:
	v_mov_b32_e32 v8, v6
	v_mov_b32_e32 v7, v5
.LBB0_9:
	s_lshl_b64 s[0:1], s[10:11], 3
	v_mul_hi_u32 v3, 0x124924a, v0
	s_add_u32 s0, s14, s0
	s_addc_u32 s1, s15, s1
	s_load_dwordx2 s[0:1], s[0:1], 0x0
	s_load_dwordx2 s[4:5], s[4:5], 0x20
	v_mul_u32_u24_e32 v3, 0xe0, v3
	v_sub_nc_u32_e32 v49, v0, v3
	v_add_nc_u32_e32 v42, 0xe0, v49
	v_add_nc_u32_e32 v43, 0x1c0, v49
	s_waitcnt lgkmcnt(0)
	v_mul_lo_u32 v4, s0, v8
	v_mul_lo_u32 v5, s1, v7
	v_mad_u64_u32 v[1:2], null, s0, v7, v[1:2]
	v_cmp_gt_u64_e32 vcc_lo, s[4:5], v[7:8]
	v_cmp_le_u64_e64 s0, s[4:5], v[7:8]
                                        ; implicit-def: $sgpr4
	v_add3_u32 v2, v5, v2, v4
	s_and_saveexec_b32 s1, s0
	s_xor_b32 s0, exec_lo, s1
; %bb.10:
	v_add_nc_u32_e32 v42, 0xe0, v49
	v_add_nc_u32_e32 v43, 0x1c0, v49
	s_mov_b32 s4, 0
; %bb.11:
	s_or_saveexec_b32 s1, s0
	v_lshlrev_b64 v[40:41], 4, v[1:2]
	v_mov_b32_e32 v48, s4
                                        ; implicit-def: $vgpr34_vgpr35
                                        ; implicit-def: $vgpr30_vgpr31
                                        ; implicit-def: $vgpr18_vgpr19
                                        ; implicit-def: $vgpr6_vgpr7
                                        ; implicit-def: $vgpr22_vgpr23
                                        ; implicit-def: $vgpr10_vgpr11
                                        ; implicit-def: $vgpr26_vgpr27
                                        ; implicit-def: $vgpr14_vgpr15
	s_xor_b32 exec_lo, exec_lo, s1
	s_cbranch_execz .LBB0_15
; %bb.12:
	v_mad_u64_u32 v[2:3], null, s2, v49, 0
	v_add_nc_u32_e32 v10, 0x310, v49
	v_mad_u64_u32 v[6:7], null, s2, v42, 0
	v_add_nc_u32_e32 v14, 0x3f0, v49
	v_add_nc_u32_e32 v16, 0x4d0, v49
	v_mad_u64_u32 v[4:5], null, s2, v10, 0
	v_mov_b32_e32 v0, v3
	v_mad_u64_u32 v[8:9], null, s2, v14, 0
	s_mov_b32 s4, exec_lo
                                        ; implicit-def: $vgpr32_vgpr33
	v_mad_u64_u32 v[0:1], null, s3, v49, v[0:1]
	v_mov_b32_e32 v1, v5
	v_mov_b32_e32 v5, v7
	;; [unrolled: 1-line block ×3, first 2 shown]
	v_mad_u64_u32 v[10:11], null, s3, v10, v[1:2]
	v_mad_u64_u32 v[11:12], null, s3, v42, v[5:6]
	;; [unrolled: 1-line block ×3, first 2 shown]
	v_mov_b32_e32 v3, v0
	v_add_co_u32 v0, s0, s12, v40
	v_mov_b32_e32 v5, v10
	v_mad_u64_u32 v[9:10], null, s3, v14, v[7:8]
	v_mad_u64_u32 v[14:15], null, s2, v16, 0
	v_mov_b32_e32 v10, v13
	v_lshlrev_b64 v[2:3], 4, v[2:3]
	v_mov_b32_e32 v7, v11
	v_add_co_ci_u32_e64 v1, s0, s13, v41, s0
	v_mad_u64_u32 v[10:11], null, s3, v43, v[10:11]
	v_lshlrev_b64 v[4:5], 4, v[4:5]
	v_mov_b32_e32 v11, v15
	v_add_co_u32 v2, s0, v0, v2
	v_lshlrev_b64 v[6:7], 4, v[6:7]
	v_add_co_ci_u32_e64 v3, s0, v1, v3, s0
	v_add_co_u32 v4, s0, v0, v4
	v_mad_u64_u32 v[15:16], null, s3, v16, v[11:12]
	v_lshlrev_b64 v[8:9], 4, v[8:9]
	v_mov_b32_e32 v13, v10
	v_add_co_ci_u32_e64 v5, s0, v1, v5, s0
	v_add_co_u32 v6, s0, v0, v6
	v_add_co_ci_u32_e64 v7, s0, v1, v7, s0
	v_lshlrev_b64 v[10:11], 4, v[12:13]
	v_add_co_u32 v16, s0, v0, v8
	v_add_co_ci_u32_e64 v17, s0, v1, v9, s0
	v_lshlrev_b64 v[8:9], 4, v[14:15]
	v_add_co_u32 v18, s0, v0, v10
	v_add_co_ci_u32_e64 v19, s0, v1, v11, s0
	v_add_co_u32 v28, s0, v0, v8
	v_add_co_ci_u32_e64 v29, s0, v1, v9, s0
	s_clause 0x5
	global_load_dwordx4 v[12:15], v[2:3], off
	global_load_dwordx4 v[24:27], v[4:5], off
	;; [unrolled: 1-line block ×6, first 2 shown]
                                        ; implicit-def: $vgpr28_vgpr29
	v_cmpx_gt_u32_e32 0x70, v49
	s_cbranch_execz .LBB0_14
; %bb.13:
	v_add_nc_u32_e32 v30, 0x2a0, v49
	v_add_nc_u32_e32 v32, 0x5b0, v49
	v_mad_u64_u32 v[2:3], null, s2, v30, 0
	v_mad_u64_u32 v[28:29], null, s2, v32, 0
	s_waitcnt vmcnt(1)
	v_mad_u64_u32 v[30:31], null, s3, v30, v[3:4]
	v_mad_u64_u32 v[31:32], null, s3, v32, v[29:30]
	v_mov_b32_e32 v3, v30
	v_lshlrev_b64 v[2:3], 4, v[2:3]
	v_mov_b32_e32 v29, v31
	v_add_co_u32 v2, s0, v0, v2
	v_lshlrev_b64 v[28:29], 4, v[28:29]
	v_add_co_ci_u32_e64 v3, s0, v1, v3, s0
	v_add_co_u32 v0, s0, v0, v28
	v_add_co_ci_u32_e64 v1, s0, v1, v29, s0
	s_clause 0x1
	global_load_dwordx4 v[28:31], v[2:3], off
	global_load_dwordx4 v[32:35], v[0:1], off
.LBB0_14:
	s_or_b32 exec_lo, exec_lo, s4
	v_mov_b32_e32 v48, v49
.LBB0_15:
	s_or_b32 exec_lo, exec_lo, s1
	s_waitcnt vmcnt(4)
	v_add_f64 v[38:39], v[12:13], -v[24:25]
	s_waitcnt vmcnt(0)
	v_add_f64 v[2:3], v[28:29], -v[32:33]
	v_add_f64 v[52:53], v[8:9], -v[20:21]
	;; [unrolled: 1-line block ×3, first 2 shown]
	v_add_nc_u32_e32 v44, 0x2a0, v49
	v_lshl_add_u32 v21, v49, 4, 0
	v_lshl_add_u32 v17, v42, 4, 0
	;; [unrolled: 1-line block ×3, first 2 shown]
	v_cmp_gt_u32_e64 s0, 0x70, v49
	v_lshl_add_u32 v20, v44, 4, 0
	v_fma_f64 v[36:37], v[12:13], 2.0, -v[38:39]
	v_fma_f64 v[0:1], v[28:29], 2.0, -v[2:3]
	v_fma_f64 v[50:51], v[8:9], 2.0, -v[52:53]
	v_fma_f64 v[54:55], v[4:5], 2.0, -v[56:57]
	ds_write_b128 v21, v[36:39]
	ds_write_b128 v17, v[50:53]
	;; [unrolled: 1-line block ×3, first 2 shown]
	s_and_saveexec_b32 s1, s0
	s_cbranch_execz .LBB0_17
; %bb.16:
	ds_write_b128 v20, v[0:3]
.LBB0_17:
	s_or_b32 exec_lo, exec_lo, s1
	v_lshlrev_b32_e32 v8, 3, v49
	v_lshlrev_b32_e32 v32, 3, v43
	v_lshlrev_b32_e32 v33, 3, v42
	s_waitcnt lgkmcnt(0)
	s_barrier
	v_sub_nc_u32_e32 v4, v21, v8
	v_sub_nc_u32_e32 v5, v16, v32
	;; [unrolled: 1-line block ×3, first 2 shown]
	buffer_gl0_inv
	v_sub_nc_u32_e32 v8, 0, v8
	v_add_nc_u32_e32 v9, 0x1800, v4
	ds_read_b64 v[24:25], v4
	ds_read_b64 v[12:13], v5
	ds_read2_b64 v[36:39], v9 offset0:16 offset1:240
	ds_read_b64 v[28:29], v28
	ds_read_b64 v[4:5], v4 offset:9856
	v_add_nc_u32_e32 v50, v21, v8
	s_and_saveexec_b32 s1, s0
	s_cbranch_execz .LBB0_19
; %bb.18:
	ds_read_b64 v[0:1], v50 offset:5376
	ds_read_b64 v[2:3], v50 offset:11648
.LBB0_19:
	s_or_b32 exec_lo, exec_lo, s1
	v_add_f64 v[53:54], v[14:15], -v[26:27]
	v_add_f64 v[61:62], v[6:7], -v[18:19]
	v_add_f64 v[8:9], v[30:31], -v[34:35]
	v_add_f64 v[57:58], v[10:11], -v[22:23]
	s_waitcnt lgkmcnt(0)
	s_barrier
	buffer_gl0_inv
	v_fma_f64 v[51:52], v[14:15], 2.0, -v[53:54]
	v_fma_f64 v[59:60], v[6:7], 2.0, -v[61:62]
	;; [unrolled: 1-line block ×4, first 2 shown]
	v_sub_nc_u32_e32 v11, 0, v33
	v_sub_nc_u32_e32 v10, 0, v32
	ds_write_b128 v21, v[51:54]
	ds_write_b128 v17, v[55:58]
	;; [unrolled: 1-line block ×3, first 2 shown]
	s_and_saveexec_b32 s1, s0
	s_cbranch_execz .LBB0_21
; %bb.20:
	ds_write_b128 v20, v[6:9]
.LBB0_21:
	s_or_b32 exec_lo, exec_lo, s1
	v_add_nc_u32_e32 v14, 0x1800, v50
	v_add_nc_u32_e32 v51, v17, v11
	;; [unrolled: 1-line block ×3, first 2 shown]
	s_waitcnt lgkmcnt(0)
	s_barrier
	buffer_gl0_inv
	ds_read2_b64 v[14:17], v14 offset0:16 offset1:240
	ds_read_b64 v[26:27], v51
	ds_read_b64 v[34:35], v50 offset:9856
	ds_read_b64 v[32:33], v50
	ds_read_b64 v[30:31], v52
	v_lshlrev_b32_e32 v56, 1, v49
	v_lshlrev_b32_e32 v55, 1, v42
	;; [unrolled: 1-line block ×3, first 2 shown]
	s_and_saveexec_b32 s1, s0
	s_cbranch_execz .LBB0_23
; %bb.22:
	ds_read_b64 v[6:7], v50 offset:5376
	ds_read_b64 v[8:9], v50 offset:11648
.LBB0_23:
	s_or_b32 exec_lo, exec_lo, s1
	v_and_b32_e32 v57, 1, v49
	v_lshlrev_b32_e32 v53, 1, v44
	v_lshlrev_b32_e32 v10, 4, v57
	v_and_or_b32 v47, 0x7fc, v54, v57
	global_load_dwordx4 v[18:21], v10, s[8:9]
	v_lshl_add_u32 v60, v47, 3, 0
	s_waitcnt vmcnt(0) lgkmcnt(0)
	s_barrier
	buffer_gl0_inv
	v_mul_f64 v[10:11], v[14:15], v[20:21]
	v_mul_f64 v[22:23], v[16:17], v[20:21]
	;; [unrolled: 1-line block ×4, first 2 shown]
	v_fma_f64 v[10:11], v[36:37], v[18:19], -v[10:11]
	v_fma_f64 v[22:23], v[38:39], v[18:19], -v[22:23]
	;; [unrolled: 1-line block ×4, first 2 shown]
	v_add_f64 v[10:11], v[24:25], -v[10:11]
	v_add_f64 v[61:62], v[28:29], -v[22:23]
	;; [unrolled: 1-line block ×4, first 2 shown]
	v_and_or_b32 v45, 0x1fc, v56, v57
	v_and_or_b32 v46, 0x3fc, v55, v57
	v_lshl_add_u32 v58, v45, 3, 0
	v_lshl_add_u32 v59, v46, 3, 0
	v_fma_f64 v[24:25], v[24:25], 2.0, -v[10:11]
	v_fma_f64 v[28:29], v[28:29], 2.0, -v[61:62]
	;; [unrolled: 1-line block ×4, first 2 shown]
	ds_write2_b64 v58, v[24:25], v[10:11] offset1:2
	ds_write2_b64 v59, v[28:29], v[61:62] offset1:2
	;; [unrolled: 1-line block ×3, first 2 shown]
	s_and_saveexec_b32 s1, s0
	s_cbranch_execz .LBB0_25
; %bb.24:
	v_and_or_b32 v10, 0x7fc, v53, v57
	v_lshl_add_u32 v10, v10, 3, 0
	ds_write2_b64 v10, v[0:1], v[22:23] offset1:2
.LBB0_25:
	s_or_b32 exec_lo, exec_lo, s1
	v_add_nc_u32_e32 v10, 0x1800, v50
	s_waitcnt lgkmcnt(0)
	s_barrier
	buffer_gl0_inv
	ds_read_b64 v[42:43], v51
	ds_read2_b64 v[10:13], v10 offset0:16 offset1:240
	ds_read_b64 v[24:25], v50 offset:9856
	ds_read_b64 v[46:47], v50
	ds_read_b64 v[44:45], v52
	s_and_saveexec_b32 s1, s0
	s_cbranch_execz .LBB0_27
; %bb.26:
	ds_read_b64 v[0:1], v50 offset:5376
	ds_read_b64 v[22:23], v50 offset:11648
.LBB0_27:
	s_or_b32 exec_lo, exec_lo, s1
	v_mul_f64 v[28:29], v[36:37], v[20:21]
	v_mul_f64 v[2:3], v[2:3], v[20:21]
	;; [unrolled: 1-line block ×4, first 2 shown]
	s_waitcnt lgkmcnt(0)
	s_barrier
	buffer_gl0_inv
	v_fma_f64 v[14:15], v[14:15], v[18:19], v[28:29]
	v_fma_f64 v[2:3], v[8:9], v[18:19], v[2:3]
	;; [unrolled: 1-line block ×4, first 2 shown]
	v_add_f64 v[14:15], v[32:33], -v[14:15]
	v_add_f64 v[28:29], v[6:7], -v[2:3]
	;; [unrolled: 1-line block ×4, first 2 shown]
	v_fma_f64 v[2:3], v[32:33], 2.0, -v[14:15]
	v_fma_f64 v[8:9], v[6:7], 2.0, -v[28:29]
	;; [unrolled: 1-line block ×4, first 2 shown]
	ds_write2_b64 v58, v[2:3], v[14:15] offset1:2
	ds_write2_b64 v59, v[18:19], v[16:17] offset1:2
	;; [unrolled: 1-line block ×3, first 2 shown]
	s_and_saveexec_b32 s1, s0
	s_cbranch_execz .LBB0_29
; %bb.28:
	v_and_or_b32 v2, 0x7fc, v53, v57
	v_lshl_add_u32 v2, v2, 3, 0
	ds_write2_b64 v2, v[8:9], v[28:29] offset1:2
.LBB0_29:
	s_or_b32 exec_lo, exec_lo, s1
	v_add_nc_u32_e32 v2, 0x1800, v50
	s_waitcnt lgkmcnt(0)
	s_barrier
	buffer_gl0_inv
	ds_read_b64 v[30:31], v51
	ds_read2_b64 v[4:7], v2 offset0:16 offset1:240
	ds_read_b64 v[36:37], v50 offset:9856
	ds_read_b64 v[34:35], v50
	ds_read_b64 v[32:33], v52
	s_and_saveexec_b32 s1, s0
	s_cbranch_execz .LBB0_31
; %bb.30:
	ds_read_b64 v[8:9], v50 offset:5376
	ds_read_b64 v[28:29], v50 offset:11648
.LBB0_31:
	s_or_b32 exec_lo, exec_lo, s1
	v_and_b32_e32 v57, 3, v49
	v_lshlrev_b32_e32 v2, 4, v57
	global_load_dwordx4 v[14:17], v2, s[8:9] offset:32
	s_waitcnt vmcnt(0) lgkmcnt(0)
	s_barrier
	buffer_gl0_inv
	v_mul_f64 v[2:3], v[4:5], v[16:17]
	v_mul_f64 v[18:19], v[6:7], v[16:17]
	;; [unrolled: 1-line block ×4, first 2 shown]
	v_fma_f64 v[2:3], v[10:11], v[14:15], -v[2:3]
	v_fma_f64 v[18:19], v[12:13], v[14:15], -v[18:19]
	;; [unrolled: 1-line block ×4, first 2 shown]
	v_add_f64 v[2:3], v[46:47], -v[2:3]
	v_add_f64 v[38:39], v[42:43], -v[18:19]
	;; [unrolled: 1-line block ×4, first 2 shown]
	v_fma_f64 v[60:61], v[46:47], 2.0, -v[2:3]
	v_fma_f64 v[42:43], v[42:43], 2.0, -v[38:39]
	;; [unrolled: 1-line block ×4, first 2 shown]
	v_and_or_b32 v0, 0x1f8, v56, v57
	v_and_or_b32 v1, 0x3f8, v55, v57
	;; [unrolled: 1-line block ×3, first 2 shown]
	v_lshl_add_u32 v47, v0, 3, 0
	v_lshl_add_u32 v58, v1, 3, 0
	;; [unrolled: 1-line block ×3, first 2 shown]
	ds_write2_b64 v47, v[60:61], v[2:3] offset1:4
	ds_write2_b64 v58, v[42:43], v[38:39] offset1:4
	;; [unrolled: 1-line block ×3, first 2 shown]
	s_and_saveexec_b32 s1, s0
	s_cbranch_execz .LBB0_33
; %bb.32:
	v_and_or_b32 v0, 0x7f8, v53, v57
	v_lshl_add_u32 v0, v0, 3, 0
	ds_write2_b64 v0, v[26:27], v[18:19] offset1:4
.LBB0_33:
	s_or_b32 exec_lo, exec_lo, s1
	v_add_nc_u32_e32 v0, 0x1800, v50
	s_waitcnt lgkmcnt(0)
	s_barrier
	buffer_gl0_inv
	ds_read_b64 v[38:39], v51
	ds_read2_b64 v[0:3], v0 offset0:16 offset1:240
	ds_read_b64 v[20:21], v50 offset:9856
	ds_read_b64 v[44:45], v50
	ds_read_b64 v[42:43], v52
	v_lshl_add_u32 v46, v49, 3, 0
	s_and_saveexec_b32 s1, s0
	s_cbranch_execz .LBB0_35
; %bb.34:
	ds_read_b64 v[26:27], v46 offset:5376
	ds_read_b64 v[18:19], v50 offset:11648
.LBB0_35:
	s_or_b32 exec_lo, exec_lo, s1
	v_mul_f64 v[10:11], v[10:11], v[16:17]
	v_mul_f64 v[12:13], v[12:13], v[16:17]
	;; [unrolled: 1-line block ×4, first 2 shown]
	s_waitcnt lgkmcnt(0)
	s_barrier
	buffer_gl0_inv
	v_fma_f64 v[4:5], v[4:5], v[14:15], v[10:11]
	v_fma_f64 v[6:7], v[6:7], v[14:15], v[12:13]
	;; [unrolled: 1-line block ×4, first 2 shown]
	v_add_f64 v[4:5], v[34:35], -v[4:5]
	v_add_f64 v[6:7], v[30:31], -v[6:7]
	;; [unrolled: 1-line block ×4, first 2 shown]
	v_fma_f64 v[12:13], v[34:35], 2.0, -v[4:5]
	v_fma_f64 v[14:15], v[30:31], 2.0, -v[6:7]
	;; [unrolled: 1-line block ×4, first 2 shown]
	ds_write2_b64 v47, v[12:13], v[4:5] offset1:4
	ds_write2_b64 v58, v[14:15], v[6:7] offset1:4
	;; [unrolled: 1-line block ×3, first 2 shown]
	s_and_saveexec_b32 s1, s0
	s_cbranch_execz .LBB0_37
; %bb.36:
	v_and_or_b32 v4, 0x7f8, v53, v57
	v_lshl_add_u32 v4, v4, 3, 0
	ds_write2_b64 v4, v[24:25], v[28:29] offset1:4
.LBB0_37:
	s_or_b32 exec_lo, exec_lo, s1
	v_add_nc_u32_e32 v4, 0x1800, v50
	s_waitcnt lgkmcnt(0)
	s_barrier
	buffer_gl0_inv
	ds_read_b64 v[30:31], v51
	ds_read2_b64 v[8:11], v4 offset0:16 offset1:240
	ds_read_b64 v[36:37], v50 offset:9856
	ds_read_b64 v[34:35], v50
	ds_read_b64 v[32:33], v52
	s_and_saveexec_b32 s1, s0
	s_cbranch_execz .LBB0_39
; %bb.38:
	ds_read_b64 v[24:25], v46 offset:5376
	ds_read_b64 v[28:29], v50 offset:11648
.LBB0_39:
	s_or_b32 exec_lo, exec_lo, s1
	v_and_b32_e32 v47, 7, v49
	v_lshlrev_b32_e32 v4, 4, v47
	v_and_or_b32 v59, 0x7f0, v54, v47
	global_load_dwordx4 v[12:15], v4, s[8:9] offset:96
	v_lshl_add_u32 v59, v59, 3, 0
	s_waitcnt vmcnt(0) lgkmcnt(0)
	s_barrier
	buffer_gl0_inv
	v_mul_f64 v[4:5], v[8:9], v[14:15]
	v_mul_f64 v[16:17], v[36:37], v[14:15]
	;; [unrolled: 1-line block ×4, first 2 shown]
	v_fma_f64 v[4:5], v[0:1], v[12:13], -v[4:5]
	v_fma_f64 v[16:17], v[20:21], v[12:13], -v[16:17]
	;; [unrolled: 1-line block ×4, first 2 shown]
	v_add_f64 v[4:5], v[44:45], -v[4:5]
	v_add_f64 v[60:61], v[42:43], -v[16:17]
	;; [unrolled: 1-line block ×4, first 2 shown]
	v_fma_f64 v[44:45], v[44:45], 2.0, -v[4:5]
	v_fma_f64 v[42:43], v[42:43], 2.0, -v[60:61]
	;; [unrolled: 1-line block ×4, first 2 shown]
	v_and_or_b32 v26, 0x1f0, v56, v47
	v_and_or_b32 v27, 0x3f0, v55, v47
	v_lshl_add_u32 v57, v26, 3, 0
	v_lshl_add_u32 v58, v27, 3, 0
	ds_write2_b64 v57, v[44:45], v[4:5] offset1:8
	ds_write2_b64 v58, v[38:39], v[6:7] offset1:8
	;; [unrolled: 1-line block ×3, first 2 shown]
	s_and_saveexec_b32 s1, s0
	s_cbranch_execz .LBB0_41
; %bb.40:
	v_and_or_b32 v4, 0x7f0, v53, v47
	v_lshl_add_u32 v4, v4, 3, 0
	ds_write2_b64 v4, v[22:23], v[16:17] offset1:8
.LBB0_41:
	s_or_b32 exec_lo, exec_lo, s1
	v_add_nc_u32_e32 v4, 0x1800, v50
	s_waitcnt lgkmcnt(0)
	s_barrier
	buffer_gl0_inv
	ds_read_b64 v[38:39], v51
	ds_read2_b64 v[4:7], v4 offset0:16 offset1:240
	ds_read_b64 v[26:27], v50 offset:9856
	ds_read_b64 v[44:45], v50
	ds_read_b64 v[42:43], v52
	s_and_saveexec_b32 s1, s0
	s_cbranch_execz .LBB0_43
; %bb.42:
	ds_read_b64 v[22:23], v46 offset:5376
	ds_read_b64 v[16:17], v50 offset:11648
.LBB0_43:
	s_or_b32 exec_lo, exec_lo, s1
	v_mul_f64 v[0:1], v[0:1], v[14:15]
	v_mul_f64 v[2:3], v[2:3], v[14:15]
	;; [unrolled: 1-line block ×4, first 2 shown]
	s_waitcnt lgkmcnt(0)
	s_barrier
	buffer_gl0_inv
	v_fma_f64 v[0:1], v[8:9], v[12:13], v[0:1]
	v_fma_f64 v[2:3], v[10:11], v[12:13], v[2:3]
	;; [unrolled: 1-line block ×4, first 2 shown]
	v_add_f64 v[0:1], v[34:35], -v[0:1]
	v_add_f64 v[2:3], v[30:31], -v[2:3]
	;; [unrolled: 1-line block ×4, first 2 shown]
	v_fma_f64 v[10:11], v[34:35], 2.0, -v[0:1]
	v_fma_f64 v[18:19], v[30:31], 2.0, -v[2:3]
	;; [unrolled: 1-line block ×4, first 2 shown]
	ds_write2_b64 v57, v[10:11], v[0:1] offset1:8
	ds_write2_b64 v58, v[18:19], v[2:3] offset1:8
	ds_write2_b64 v59, v[20:21], v[8:9] offset1:8
	s_and_saveexec_b32 s1, s0
	s_cbranch_execz .LBB0_45
; %bb.44:
	v_and_or_b32 v0, 0x7f0, v53, v47
	v_lshl_add_u32 v0, v0, 3, 0
	ds_write2_b64 v0, v[14:15], v[12:13] offset1:8
.LBB0_45:
	s_or_b32 exec_lo, exec_lo, s1
	v_add_nc_u32_e32 v0, 0x1800, v50
	s_waitcnt lgkmcnt(0)
	s_barrier
	buffer_gl0_inv
	ds_read_b64 v[18:19], v51
	ds_read2_b64 v[0:3], v0 offset0:16 offset1:240
	ds_read_b64 v[28:29], v50 offset:9856
	ds_read_b64 v[24:25], v50
	ds_read_b64 v[20:21], v52
	s_and_saveexec_b32 s1, s0
	s_cbranch_execz .LBB0_47
; %bb.46:
	ds_read_b64 v[14:15], v46 offset:5376
	ds_read_b64 v[12:13], v50 offset:11648
.LBB0_47:
	s_or_b32 exec_lo, exec_lo, s1
	v_and_b32_e32 v30, 15, v49
	v_lshlrev_b32_e32 v8, 4, v30
	global_load_dwordx4 v[8:11], v8, s[8:9] offset:224
	s_waitcnt vmcnt(0) lgkmcnt(0)
	s_barrier
	buffer_gl0_inv
	v_mul_f64 v[31:32], v[0:1], v[10:11]
	v_mul_f64 v[33:34], v[2:3], v[10:11]
	;; [unrolled: 1-line block ×3, first 2 shown]
	v_fma_f64 v[31:32], v[4:5], v[8:9], -v[31:32]
	v_fma_f64 v[33:34], v[6:7], v[8:9], -v[33:34]
	;; [unrolled: 1-line block ×3, first 2 shown]
	v_add_f64 v[57:58], v[44:45], -v[31:32]
	v_add_f64 v[59:60], v[38:39], -v[33:34]
	;; [unrolled: 1-line block ×3, first 2 shown]
	v_and_or_b32 v31, 0x1e0, v56, v30
	v_and_or_b32 v32, 0x3e0, v55, v30
	;; [unrolled: 1-line block ×3, first 2 shown]
	v_lshl_add_u32 v31, v31, 3, 0
	v_lshl_add_u32 v32, v32, 3, 0
	;; [unrolled: 1-line block ×3, first 2 shown]
	v_fma_f64 v[36:37], v[44:45], 2.0, -v[57:58]
	v_fma_f64 v[38:39], v[38:39], 2.0, -v[59:60]
	;; [unrolled: 1-line block ×3, first 2 shown]
	ds_write2_b64 v31, v[36:37], v[57:58] offset1:16
	ds_write2_b64 v32, v[38:39], v[59:60] offset1:16
	;; [unrolled: 1-line block ×3, first 2 shown]
	s_and_saveexec_b32 s1, s0
	s_cbranch_execz .LBB0_49
; %bb.48:
	v_mul_f64 v[34:35], v[12:13], v[10:11]
	v_and_or_b32 v36, 0x7e0, v53, v30
	v_lshl_add_u32 v36, v36, 3, 0
	v_fma_f64 v[34:35], v[16:17], v[8:9], -v[34:35]
	v_add_f64 v[34:35], v[22:23], -v[34:35]
	v_fma_f64 v[22:23], v[22:23], 2.0, -v[34:35]
	ds_write2_b64 v36, v[22:23], v[34:35] offset1:16
.LBB0_49:
	s_or_b32 exec_lo, exec_lo, s1
	v_mul_f64 v[4:5], v[4:5], v[10:11]
	v_mul_f64 v[6:7], v[6:7], v[10:11]
	;; [unrolled: 1-line block ×3, first 2 shown]
	v_add_nc_u32_e32 v26, 0x2300, v50
	s_waitcnt lgkmcnt(0)
	s_barrier
	buffer_gl0_inv
	v_fma_f64 v[0:1], v[0:1], v[8:9], v[4:5]
	v_fma_f64 v[2:3], v[2:3], v[8:9], v[6:7]
	;; [unrolled: 1-line block ×3, first 2 shown]
	v_add_f64 v[27:28], v[24:25], -v[0:1]
	v_add_f64 v[34:35], v[18:19], -v[2:3]
	;; [unrolled: 1-line block ×3, first 2 shown]
	ds_read2st64_b64 v[0:3], v50 offset1:14
	v_fma_f64 v[24:25], v[24:25], 2.0, -v[27:28]
	v_fma_f64 v[38:39], v[18:19], 2.0, -v[34:35]
	;; [unrolled: 1-line block ×3, first 2 shown]
	ds_read_b64 v[22:23], v51
	ds_read_b64 v[20:21], v52
	ds_read_b64 v[18:19], v46 offset:5376
	ds_read2_b64 v[4:7], v26 offset1:224
	s_waitcnt lgkmcnt(0)
	s_barrier
	buffer_gl0_inv
	ds_write2_b64 v31, v[24:25], v[27:28] offset1:16
	ds_write2_b64 v32, v[38:39], v[34:35] offset1:16
	;; [unrolled: 1-line block ×3, first 2 shown]
	s_and_saveexec_b32 s1, s0
	s_cbranch_execz .LBB0_51
; %bb.50:
	v_mul_f64 v[10:11], v[16:17], v[10:11]
	v_fma_f64 v[8:9], v[12:13], v[8:9], v[10:11]
	v_and_or_b32 v12, 0x7e0, v53, v30
	v_lshl_add_u32 v12, v12, 3, 0
	v_add_f64 v[8:9], v[14:15], -v[8:9]
	v_fma_f64 v[10:11], v[14:15], 2.0, -v[8:9]
	ds_write2_b64 v12, v[10:11], v[8:9] offset1:16
.LBB0_51:
	s_or_b32 exec_lo, exec_lo, s1
	v_and_b32_e32 v39, 31, v49
	s_waitcnt lgkmcnt(0)
	s_barrier
	buffer_gl0_inv
	s_mov_b32 s10, 0x37e14327
	v_mul_u32_u24_e32 v8, 6, v39
	s_mov_b32 s18, 0xe976ee23
	s_mov_b32 s11, 0x3fe948f6
	;; [unrolled: 1-line block ×4, first 2 shown]
	v_lshlrev_b32_e32 v16, 4, v8
	s_mov_b32 s6, 0x429ad128
	s_mov_b32 s1, 0x3fac98ee
	;; [unrolled: 1-line block ×4, first 2 shown]
	s_clause 0x5
	global_load_dwordx4 v[8:11], v16, s[8:9] offset:480
	global_load_dwordx4 v[12:15], v16, s[8:9] offset:496
	;; [unrolled: 1-line block ×6, first 2 shown]
	ds_read_b64 v[16:17], v51
	ds_read_b64 v[24:25], v52
	ds_read2_b64 v[53:56], v26 offset1:224
	s_mov_b32 s20, 0xb247c609
	s_mov_b32 s5, 0xbff2aaaa
	s_mov_b32 s14, 0x5476071b
	s_mov_b32 s21, 0x3fd5d0dc
	s_mov_b32 s15, 0x3fe77f67
	s_mov_b32 s17, 0xbfe77f67
	s_mov_b32 s25, 0xbfd5d0dc
	s_mov_b32 s16, s14
	s_mov_b32 s24, s20
	s_mov_b32 s22, 0x37c3f68c
	s_mov_b32 s23, 0x3fdc38aa
	s_waitcnt vmcnt(5) lgkmcnt(2)
	v_mul_f64 v[57:58], v[16:17], v[10:11]
	v_mul_f64 v[10:11], v[22:23], v[10:11]
	s_waitcnt vmcnt(4) lgkmcnt(1)
	v_mul_f64 v[59:60], v[24:25], v[14:15]
	v_mul_f64 v[14:15], v[20:21], v[14:15]
	s_waitcnt vmcnt(3) lgkmcnt(0)
	v_mul_f64 v[61:62], v[53:54], v[29:30]
	s_waitcnt vmcnt(2)
	v_mul_f64 v[63:64], v[55:56], v[33:34]
	v_mul_f64 v[33:34], v[6:7], v[33:34]
	v_fma_f64 v[22:23], v[22:23], v[8:9], -v[57:58]
	v_fma_f64 v[16:17], v[16:17], v[8:9], v[10:11]
	ds_read_b64 v[57:58], v46 offset:5376
	ds_read2st64_b64 v[8:11], v50 offset1:14
	v_fma_f64 v[20:21], v[20:21], v[12:13], -v[59:60]
	v_fma_f64 v[12:13], v[24:25], v[12:13], v[14:15]
	v_fma_f64 v[24:25], v[4:5], v[27:28], -v[61:62]
	v_fma_f64 v[6:7], v[6:7], v[31:32], -v[63:64]
	v_mul_f64 v[4:5], v[4:5], v[29:30]
	s_waitcnt vmcnt(1)
	v_mul_f64 v[29:30], v[18:19], v[37:38]
	v_fma_f64 v[31:32], v[55:56], v[31:32], v[33:34]
	s_waitcnt vmcnt(0) lgkmcnt(0)
	s_barrier
	buffer_gl0_inv
	v_mul_f64 v[14:15], v[57:58], v[37:38]
	v_mul_f64 v[33:34], v[10:11], v[44:45]
	;; [unrolled: 1-line block ×3, first 2 shown]
	v_fma_f64 v[4:5], v[53:54], v[27:28], v[4:5]
	v_add_f64 v[27:28], v[22:23], v[6:7]
	v_add_f64 v[6:7], v[22:23], -v[6:7]
	v_fma_f64 v[14:15], v[18:19], v[35:36], -v[14:15]
	v_fma_f64 v[18:19], v[57:58], v[35:36], v[29:30]
	v_fma_f64 v[2:3], v[2:3], v[42:43], -v[33:34]
	v_fma_f64 v[10:11], v[10:11], v[42:43], v[37:38]
	v_add_f64 v[29:30], v[20:21], v[24:25]
	v_add_f64 v[33:34], v[16:17], v[31:32]
	v_add_f64 v[16:17], v[16:17], -v[31:32]
	v_add_f64 v[35:36], v[12:13], v[4:5]
	v_add_f64 v[4:5], v[12:13], -v[4:5]
	;; [unrolled: 2-line block ×3, first 2 shown]
	v_add_f64 v[31:32], v[29:30], v[27:28]
	v_add_f64 v[10:11], v[18:19], v[10:11]
	v_add_f64 v[18:19], v[20:21], -v[24:25]
	v_add_f64 v[2:3], v[2:3], -v[14:15]
	v_add_f64 v[14:15], v[35:36], v[33:34]
	v_add_f64 v[24:25], v[4:5], -v[16:17]
	v_add_f64 v[20:21], v[27:28], -v[12:13]
	v_add_f64 v[22:23], v[37:38], -v[4:5]
	v_add_f64 v[31:32], v[12:13], v[31:32]
	v_add_f64 v[12:13], v[12:13], -v[29:30]
	;; [unrolled: 4-line block ×4, first 2 shown]
	v_add_f64 v[33:34], v[35:36], -v[33:34]
	v_add_f64 v[18:19], v[2:3], v[18:19]
	v_add_f64 v[2:3], v[6:7], -v[2:3]
	v_mul_f64 v[14:15], v[20:21], s[10:11]
	v_mul_f64 v[20:21], v[22:23], s[18:19]
	v_add_f64 v[0:1], v[0:1], v[31:32]
	v_mul_f64 v[22:23], v[24:25], s[6:7]
	v_mul_f64 v[29:30], v[12:13], s[0:1]
	;; [unrolled: 1-line block ×4, first 2 shown]
	v_add_f64 v[4:5], v[4:5], v[16:17]
	v_mul_f64 v[16:17], v[53:54], s[18:19]
	v_mul_f64 v[53:54], v[55:56], s[6:7]
	v_add_f64 v[57:58], v[8:9], v[10:11]
	v_add_f64 v[6:7], v[18:19], v[6:7]
	v_fma_f64 v[8:9], v[12:13], s[0:1], v[14:15]
	v_fma_f64 v[12:13], v[37:38], s[20:21], v[20:21]
	v_fma_f64 v[20:21], v[24:25], s[6:7], -v[20:21]
	v_fma_f64 v[24:25], v[31:32], s[4:5], v[0:1]
	v_fma_f64 v[22:23], v[37:38], s[24:25], -v[22:23]
	v_fma_f64 v[14:15], v[27:28], s[16:17], -v[14:15]
	;; [unrolled: 1-line block ×3, first 2 shown]
	v_fma_f64 v[18:19], v[44:45], s[0:1], v[35:36]
	v_fma_f64 v[29:30], v[33:34], s[14:15], -v[42:43]
	v_fma_f64 v[31:32], v[33:34], s[16:17], -v[35:36]
	v_fma_f64 v[33:34], v[2:3], s[20:21], v[16:17]
	v_fma_f64 v[16:17], v[55:56], s[6:7], -v[16:17]
	v_fma_f64 v[2:3], v[2:3], s[24:25], -v[53:54]
	v_fma_f64 v[10:11], v[10:11], s[4:5], v[57:58]
	v_fma_f64 v[12:13], v[4:5], s[22:23], v[12:13]
	;; [unrolled: 1-line block ×3, first 2 shown]
	v_add_f64 v[8:9], v[8:9], v[24:25]
	v_fma_f64 v[4:5], v[4:5], s[22:23], v[22:23]
	v_add_f64 v[14:15], v[14:15], v[24:25]
	v_add_f64 v[22:23], v[27:28], v[24:25]
	v_fma_f64 v[24:25], v[6:7], s[22:23], v[33:34]
	v_fma_f64 v[16:17], v[6:7], s[22:23], v[16:17]
	;; [unrolled: 1-line block ×3, first 2 shown]
	v_add_f64 v[6:7], v[18:19], v[10:11]
	v_add_f64 v[18:19], v[31:32], v[10:11]
	;; [unrolled: 1-line block ×3, first 2 shown]
	v_lshrrev_b32_e32 v33, 5, v49
	v_add_f64 v[27:28], v[12:13], v[8:9]
	v_add_f64 v[8:9], v[8:9], -v[12:13]
	v_add_f64 v[29:30], v[4:5], v[14:15]
	v_add_f64 v[31:32], v[22:23], -v[20:21]
	;; [unrolled: 2-line block ×3, first 2 shown]
	v_mul_u32_u24_e32 v12, 0xe0, v33
	v_add_f64 v[14:15], v[6:7], -v[24:25]
	v_or_b32_e32 v12, v12, v39
	v_add_f64 v[22:23], v[18:19], -v[2:3]
	v_add_f64 v[33:34], v[16:17], v[10:11]
	v_add_f64 v[16:17], v[10:11], -v[16:17]
	v_add_f64 v[18:19], v[2:3], v[18:19]
	v_lshl_add_u32 v35, v12, 3, 0
	v_add_f64 v[24:25], v[24:25], v[6:7]
	ds_write2_b64 v35, v[0:1], v[27:28] offset1:32
	ds_write2_b64 v35, v[29:30], v[31:32] offset0:64 offset1:96
	ds_write2_b64 v35, v[20:21], v[4:5] offset0:128 offset1:160
	ds_write_b64 v35, v[8:9] offset:1536
	s_waitcnt lgkmcnt(0)
	s_barrier
	buffer_gl0_inv
	ds_read2st64_b64 v[0:3], v50 offset1:14
	ds_read_b64 v[10:11], v51
	ds_read_b64 v[12:13], v52
	ds_read_b64 v[8:9], v46 offset:5376
	ds_read2_b64 v[4:7], v26 offset1:224
	s_waitcnt lgkmcnt(0)
	s_barrier
	buffer_gl0_inv
	ds_write2_b64 v35, v[57:58], v[14:15] offset1:32
	ds_write2_b64 v35, v[22:23], v[33:34] offset0:64 offset1:96
	ds_write2_b64 v35, v[16:17], v[18:19] offset0:128 offset1:160
	ds_write_b64 v35, v[24:25] offset:1536
	s_waitcnt lgkmcnt(0)
	s_barrier
	buffer_gl0_inv
	s_and_saveexec_b32 s26, vcc_lo
	s_cbranch_execz .LBB0_53
; %bb.52:
	v_mul_u32_u24_e32 v14, 6, v49
	v_add_nc_u32_e32 v42, 0x2300, v50
	v_lshlrev_b32_e32 v14, 4, v14
	v_add_co_u32 v24, s8, s8, v14
	v_add_co_ci_u32_e64 v25, null, s9, 0, s8
	v_add_co_u32 v34, vcc_lo, 0xde0, v24
	v_add_co_ci_u32_e32 v35, vcc_lo, 0, v25, vcc_lo
	v_add_co_u32 v22, vcc_lo, 0x800, v24
	v_add_co_ci_u32_e32 v23, vcc_lo, 0, v25, vcc_lo
	global_load_dwordx4 v[14:17], v[34:35], off offset:16
	v_add_co_u32 v26, vcc_lo, 0xe20, v24
	global_load_dwordx4 v[18:21], v[22:23], off offset:1504
	v_add_co_ci_u32_e32 v27, vcc_lo, 0, v25, vcc_lo
	s_clause 0x3
	global_load_dwordx4 v[22:25], v[22:23], off offset:1568
	global_load_dwordx4 v[26:29], v[26:27], off offset:16
	;; [unrolled: 1-line block ×4, first 2 shown]
	ds_read_b64 v[38:39], v52
	ds_read_b64 v[51:52], v51
	ds_read2_b64 v[42:45], v42 offset1:224
	v_add_co_u32 v60, vcc_lo, s12, v40
	v_add_co_ci_u32_e32 v61, vcc_lo, s13, v41, vcc_lo
	s_waitcnt vmcnt(5) lgkmcnt(2)
	v_mul_f64 v[53:54], v[38:39], v[16:17]
	v_mul_f64 v[16:17], v[12:13], v[16:17]
	s_waitcnt vmcnt(4) lgkmcnt(1)
	v_mul_f64 v[55:56], v[51:52], v[20:21]
	v_mul_f64 v[20:21], v[10:11], v[20:21]
	s_waitcnt vmcnt(3)
	v_mul_f64 v[57:58], v[4:5], v[24:25]
	s_waitcnt lgkmcnt(0)
	v_mul_f64 v[24:25], v[42:43], v[24:25]
	v_fma_f64 v[53:54], v[12:13], v[14:15], -v[53:54]
	v_fma_f64 v[16:17], v[14:15], v[38:39], v[16:17]
	s_waitcnt vmcnt(2)
	v_mul_f64 v[38:39], v[6:7], v[28:29]
	ds_read2st64_b64 v[12:15], v50 offset1:14
	ds_read_b64 v[46:47], v46 offset:5376
	v_fma_f64 v[10:11], v[10:11], v[18:19], -v[55:56]
	v_fma_f64 v[18:19], v[18:19], v[51:52], v[20:21]
	v_mul_f64 v[20:21], v[44:45], v[28:29]
	s_waitcnt vmcnt(1)
	v_mul_f64 v[28:29], v[8:9], v[32:33]
	s_waitcnt vmcnt(0)
	v_mul_f64 v[49:50], v[2:3], v[36:37]
	v_fma_f64 v[42:43], v[22:23], v[42:43], v[57:58]
	v_fma_f64 v[4:5], v[4:5], v[22:23], -v[24:25]
	v_add_nc_u32_e32 v55, 0x2a0, v48
	v_add_nc_u32_e32 v56, 0x380, v48
	s_waitcnt lgkmcnt(1)
	v_mul_f64 v[36:37], v[14:15], v[36:37]
	s_waitcnt lgkmcnt(0)
	v_mul_f64 v[32:33], v[46:47], v[32:33]
	v_fma_f64 v[38:39], v[26:27], v[44:45], v[38:39]
	v_fma_f64 v[6:7], v[6:7], v[26:27], -v[20:21]
	v_fma_f64 v[20:21], v[30:31], v[46:47], v[28:29]
	v_fma_f64 v[14:15], v[34:35], v[14:15], v[49:50]
	v_add_f64 v[22:23], v[16:17], v[42:43]
	v_add_f64 v[26:27], v[53:54], v[4:5]
	v_add_f64 v[16:17], v[16:17], -v[42:43]
	v_add_nc_u32_e32 v46, 0xe0, v48
	v_add_nc_u32_e32 v49, 0x1c0, v48
	v_add_f64 v[4:5], v[53:54], -v[4:5]
	v_mad_u64_u32 v[40:41], null, s2, v49, 0
	v_fma_f64 v[2:3], v[2:3], v[34:35], -v[36:37]
	v_fma_f64 v[8:9], v[8:9], v[30:31], -v[32:33]
	v_add_f64 v[24:25], v[18:19], v[38:39]
	v_add_f64 v[18:19], v[18:19], -v[38:39]
	v_mad_u64_u32 v[30:31], null, s2, v48, 0
	v_add_f64 v[28:29], v[10:11], v[6:7]
	v_add_f64 v[6:7], v[10:11], -v[6:7]
	v_add_f64 v[32:33], v[14:15], v[20:21]
	v_add_f64 v[14:15], v[14:15], -v[20:21]
	v_mad_u64_u32 v[34:35], null, s2, v46, 0
	v_mad_u64_u32 v[20:21], null, s2, v55, 0
	v_add_f64 v[36:37], v[2:3], -v[8:9]
	v_add_f64 v[2:3], v[2:3], v[8:9]
	v_add_f64 v[8:9], v[22:23], v[24:25]
	;; [unrolled: 1-line block ×3, first 2 shown]
	v_add_f64 v[42:43], v[24:25], -v[32:33]
	v_add_f64 v[44:45], v[32:33], -v[22:23]
	v_mad_u64_u32 v[38:39], null, s3, v48, v[31:32]
	v_mov_b32_e32 v31, v35
	v_mov_b32_e32 v35, v41
	v_add_f64 v[22:23], v[22:23], -v[24:25]
	v_mad_u64_u32 v[46:47], null, s3, v46, v[31:32]
	v_mov_b32_e32 v31, v38
	v_mad_u64_u32 v[49:50], null, s3, v49, v[35:36]
	v_add_f64 v[24:25], v[2:3], -v[26:27]
	v_add_f64 v[51:52], v[28:29], -v[2:3]
	;; [unrolled: 1-line block ×4, first 2 shown]
	v_add_f64 v[8:9], v[32:33], v[8:9]
	v_mul_f64 v[42:43], v[42:43], s[10:11]
	v_mul_f64 v[28:29], v[44:45], s[0:1]
	v_add_f64 v[32:33], v[4:5], -v[6:7]
	v_add_f64 v[10:11], v[2:3], v[10:11]
	v_mov_b32_e32 v35, v46
	v_mov_b32_e32 v41, v49
	v_add_f64 v[4:5], v[36:37], v[4:5]
	v_add_f64 v[46:47], v[16:17], -v[18:19]
	v_add_f64 v[49:50], v[14:15], -v[16:17]
	v_add_f64 v[16:17], v[14:15], v[16:17]
	v_mad_u64_u32 v[53:54], null, s3, v55, v[21:22]
	v_add_f64 v[36:37], v[6:7], -v[36:37]
	v_add_f64 v[14:15], v[18:19], -v[14:15]
	v_mad_u64_u32 v[54:55], null, s2, v56, 0
	v_mul_f64 v[51:52], v[51:52], s[10:11]
	v_mul_f64 v[38:39], v[38:39], s[18:19]
	v_add_f64 v[2:3], v[12:13], v[8:9]
	v_fma_f64 v[44:45], v[44:45], s[0:1], v[42:43]
	v_fma_f64 v[42:43], v[22:23], s[16:17], -v[42:43]
	v_fma_f64 v[22:23], v[22:23], s[14:15], -v[28:29]
	v_mul_f64 v[12:13], v[32:33], s[6:7]
	v_add_f64 v[0:1], v[0:1], v[10:11]
	v_mov_b32_e32 v21, v55
	v_add_f64 v[4:5], v[4:5], v[6:7]
	v_mul_f64 v[6:7], v[46:47], s[6:7]
	v_mul_f64 v[49:50], v[49:50], s[18:19]
	v_add_f64 v[16:17], v[16:17], v[18:19]
	v_mul_f64 v[18:19], v[24:25], s[0:1]
	v_add_nc_u32_e32 v55, 0x540, v48
	v_fma_f64 v[24:25], v[24:25], s[0:1], v[51:52]
	v_fma_f64 v[32:33], v[32:33], s[6:7], -v[38:39]
	v_fma_f64 v[8:9], v[8:9], s[4:5], v[2:3]
	v_mad_u64_u32 v[28:29], null, s3, v56, v[21:22]
	v_add_nc_u32_e32 v29, 0x460, v48
	v_fma_f64 v[12:13], v[36:37], s[24:25], -v[12:13]
	v_fma_f64 v[36:37], v[36:37], s[20:21], v[38:39]
	v_fma_f64 v[6:7], v[14:15], s[24:25], -v[6:7]
	v_fma_f64 v[14:15], v[14:15], s[20:21], v[49:50]
	v_mad_u64_u32 v[38:39], null, s2, v29, 0
	v_fma_f64 v[10:11], v[10:11], s[4:5], v[0:1]
	v_fma_f64 v[46:47], v[46:47], s[6:7], -v[49:50]
	v_fma_f64 v[50:51], v[26:27], s[16:17], -v[51:52]
	;; [unrolled: 1-line block ×3, first 2 shown]
	v_mad_u64_u32 v[48:49], null, s2, v55, 0
	v_mov_b32_e32 v21, v39
	v_add_f64 v[44:45], v[44:45], v[8:9]
	v_mad_u64_u32 v[26:27], null, s3, v29, v[21:22]
	v_mov_b32_e32 v21, v49
	v_add_f64 v[42:43], v[42:43], v[8:9]
	v_lshlrev_b64 v[29:30], 4, v[30:31]
	v_fma_f64 v[12:13], v[4:5], s[22:23], v[12:13]
	v_fma_f64 v[31:32], v[4:5], s[22:23], v[32:33]
	v_mad_u64_u32 v[56:57], null, s3, v55, v[21:22]
	v_mov_b32_e32 v21, v53
	v_mov_b32_e32 v55, v28
	;; [unrolled: 1-line block ×3, first 2 shown]
	v_lshlrev_b64 v[26:27], 4, v[34:35]
	v_lshlrev_b64 v[34:35], 4, v[40:41]
	;; [unrolled: 1-line block ×3, first 2 shown]
	v_fma_f64 v[20:21], v[4:5], s[22:23], v[36:37]
	v_fma_f64 v[36:37], v[16:17], s[22:23], v[14:15]
	v_add_f64 v[24:25], v[24:25], v[10:11]
	v_lshlrev_b64 v[52:53], 4, v[54:55]
	v_fma_f64 v[54:55], v[16:17], s[22:23], v[6:7]
	v_add_f64 v[50:51], v[50:51], v[10:11]
	v_mov_b32_e32 v49, v56
	v_add_f64 v[8:9], v[22:23], v[8:9]
	v_fma_f64 v[46:47], v[16:17], s[22:23], v[46:47]
	v_add_f64 v[56:57], v[18:19], v[10:11]
	v_add_co_u32 v28, vcc_lo, v60, v29
	v_add_co_ci_u32_e32 v29, vcc_lo, v61, v30, vcc_lo
	v_add_co_u32 v58, vcc_lo, v60, v26
	v_add_co_ci_u32_e32 v59, vcc_lo, v61, v27, vcc_lo
	v_add_f64 v[22:23], v[42:43], -v[12:13]
	v_add_f64 v[10:11], v[12:13], v[42:43]
	v_add_co_u32 v33, vcc_lo, v60, v34
	v_add_f64 v[26:27], v[44:45], -v[20:21]
	v_add_f64 v[6:7], v[20:21], v[44:45]
	v_add_f64 v[4:5], v[24:25], -v[36:37]
	v_add_f64 v[24:25], v[36:37], v[24:25]
	v_add_co_ci_u32_e32 v34, vcc_lo, v61, v35, vcc_lo
	v_add_f64 v[20:21], v[54:55], v[50:51]
	v_add_f64 v[18:19], v[31:32], v[8:9]
	v_add_f64 v[14:15], v[8:9], -v[31:32]
	v_add_f64 v[16:17], v[56:57], -v[46:47]
	v_add_f64 v[12:13], v[46:47], v[56:57]
	v_add_f64 v[8:9], v[50:51], -v[54:55]
	v_lshlrev_b64 v[38:39], 4, v[38:39]
	v_add_co_u32 v30, vcc_lo, v60, v40
	v_add_co_ci_u32_e32 v31, vcc_lo, v61, v41, vcc_lo
	v_lshlrev_b64 v[48:49], 4, v[48:49]
	v_add_co_u32 v35, vcc_lo, v60, v52
	v_add_co_ci_u32_e32 v36, vcc_lo, v61, v53, vcc_lo
	v_add_co_u32 v37, vcc_lo, v60, v38
	v_add_co_ci_u32_e32 v38, vcc_lo, v61, v39, vcc_lo
	;; [unrolled: 2-line block ×3, first 2 shown]
	global_store_dwordx4 v[28:29], v[0:3], off
	global_store_dwordx4 v[58:59], v[24:27], off
	;; [unrolled: 1-line block ×7, first 2 shown]
.LBB0_53:
	s_endpgm
	.section	.rodata,"a",@progbits
	.p2align	6, 0x0
	.amdhsa_kernel fft_rtc_fwd_len1568_factors_2_2_2_2_2_7_7_wgs_224_tpt_224_halfLds_dp_ip_CI_sbrr_dirReg
		.amdhsa_group_segment_fixed_size 0
		.amdhsa_private_segment_fixed_size 0
		.amdhsa_kernarg_size 88
		.amdhsa_user_sgpr_count 6
		.amdhsa_user_sgpr_private_segment_buffer 1
		.amdhsa_user_sgpr_dispatch_ptr 0
		.amdhsa_user_sgpr_queue_ptr 0
		.amdhsa_user_sgpr_kernarg_segment_ptr 1
		.amdhsa_user_sgpr_dispatch_id 0
		.amdhsa_user_sgpr_flat_scratch_init 0
		.amdhsa_user_sgpr_private_segment_size 0
		.amdhsa_wavefront_size32 1
		.amdhsa_uses_dynamic_stack 0
		.amdhsa_system_sgpr_private_segment_wavefront_offset 0
		.amdhsa_system_sgpr_workgroup_id_x 1
		.amdhsa_system_sgpr_workgroup_id_y 0
		.amdhsa_system_sgpr_workgroup_id_z 0
		.amdhsa_system_sgpr_workgroup_info 0
		.amdhsa_system_vgpr_workitem_id 0
		.amdhsa_next_free_vgpr 65
		.amdhsa_next_free_sgpr 27
		.amdhsa_reserve_vcc 1
		.amdhsa_reserve_flat_scratch 0
		.amdhsa_float_round_mode_32 0
		.amdhsa_float_round_mode_16_64 0
		.amdhsa_float_denorm_mode_32 3
		.amdhsa_float_denorm_mode_16_64 3
		.amdhsa_dx10_clamp 1
		.amdhsa_ieee_mode 1
		.amdhsa_fp16_overflow 0
		.amdhsa_workgroup_processor_mode 1
		.amdhsa_memory_ordered 1
		.amdhsa_forward_progress 0
		.amdhsa_shared_vgpr_count 0
		.amdhsa_exception_fp_ieee_invalid_op 0
		.amdhsa_exception_fp_denorm_src 0
		.amdhsa_exception_fp_ieee_div_zero 0
		.amdhsa_exception_fp_ieee_overflow 0
		.amdhsa_exception_fp_ieee_underflow 0
		.amdhsa_exception_fp_ieee_inexact 0
		.amdhsa_exception_int_div_zero 0
	.end_amdhsa_kernel
	.text
.Lfunc_end0:
	.size	fft_rtc_fwd_len1568_factors_2_2_2_2_2_7_7_wgs_224_tpt_224_halfLds_dp_ip_CI_sbrr_dirReg, .Lfunc_end0-fft_rtc_fwd_len1568_factors_2_2_2_2_2_7_7_wgs_224_tpt_224_halfLds_dp_ip_CI_sbrr_dirReg
                                        ; -- End function
	.section	.AMDGPU.csdata,"",@progbits
; Kernel info:
; codeLenInByte = 7660
; NumSgprs: 29
; NumVgprs: 65
; ScratchSize: 0
; MemoryBound: 1
; FloatMode: 240
; IeeeMode: 1
; LDSByteSize: 0 bytes/workgroup (compile time only)
; SGPRBlocks: 3
; VGPRBlocks: 8
; NumSGPRsForWavesPerEU: 29
; NumVGPRsForWavesPerEU: 65
; Occupancy: 12
; WaveLimiterHint : 1
; COMPUTE_PGM_RSRC2:SCRATCH_EN: 0
; COMPUTE_PGM_RSRC2:USER_SGPR: 6
; COMPUTE_PGM_RSRC2:TRAP_HANDLER: 0
; COMPUTE_PGM_RSRC2:TGID_X_EN: 1
; COMPUTE_PGM_RSRC2:TGID_Y_EN: 0
; COMPUTE_PGM_RSRC2:TGID_Z_EN: 0
; COMPUTE_PGM_RSRC2:TIDIG_COMP_CNT: 0
	.text
	.p2alignl 6, 3214868480
	.fill 48, 4, 3214868480
	.type	__hip_cuid_8dcd971ef743123e,@object ; @__hip_cuid_8dcd971ef743123e
	.section	.bss,"aw",@nobits
	.globl	__hip_cuid_8dcd971ef743123e
__hip_cuid_8dcd971ef743123e:
	.byte	0                               ; 0x0
	.size	__hip_cuid_8dcd971ef743123e, 1

	.ident	"AMD clang version 19.0.0git (https://github.com/RadeonOpenCompute/llvm-project roc-6.4.0 25133 c7fe45cf4b819c5991fe208aaa96edf142730f1d)"
	.section	".note.GNU-stack","",@progbits
	.addrsig
	.addrsig_sym __hip_cuid_8dcd971ef743123e
	.amdgpu_metadata
---
amdhsa.kernels:
  - .args:
      - .actual_access:  read_only
        .address_space:  global
        .offset:         0
        .size:           8
        .value_kind:     global_buffer
      - .offset:         8
        .size:           8
        .value_kind:     by_value
      - .actual_access:  read_only
        .address_space:  global
        .offset:         16
        .size:           8
        .value_kind:     global_buffer
      - .actual_access:  read_only
        .address_space:  global
        .offset:         24
        .size:           8
        .value_kind:     global_buffer
      - .offset:         32
        .size:           8
        .value_kind:     by_value
      - .actual_access:  read_only
        .address_space:  global
        .offset:         40
        .size:           8
        .value_kind:     global_buffer
      - .actual_access:  read_only
        .address_space:  global
        .offset:         48
        .size:           8
        .value_kind:     global_buffer
      - .offset:         56
        .size:           4
        .value_kind:     by_value
      - .actual_access:  read_only
        .address_space:  global
        .offset:         64
        .size:           8
        .value_kind:     global_buffer
      - .actual_access:  read_only
        .address_space:  global
        .offset:         72
        .size:           8
        .value_kind:     global_buffer
      - .address_space:  global
        .offset:         80
        .size:           8
        .value_kind:     global_buffer
    .group_segment_fixed_size: 0
    .kernarg_segment_align: 8
    .kernarg_segment_size: 88
    .language:       OpenCL C
    .language_version:
      - 2
      - 0
    .max_flat_workgroup_size: 224
    .name:           fft_rtc_fwd_len1568_factors_2_2_2_2_2_7_7_wgs_224_tpt_224_halfLds_dp_ip_CI_sbrr_dirReg
    .private_segment_fixed_size: 0
    .sgpr_count:     29
    .sgpr_spill_count: 0
    .symbol:         fft_rtc_fwd_len1568_factors_2_2_2_2_2_7_7_wgs_224_tpt_224_halfLds_dp_ip_CI_sbrr_dirReg.kd
    .uniform_work_group_size: 1
    .uses_dynamic_stack: false
    .vgpr_count:     65
    .vgpr_spill_count: 0
    .wavefront_size: 32
    .workgroup_processor_mode: 1
amdhsa.target:   amdgcn-amd-amdhsa--gfx1030
amdhsa.version:
  - 1
  - 2
...

	.end_amdgpu_metadata
